;; amdgpu-corpus repo=ROCm/rocFFT kind=compiled arch=gfx1100 opt=O3
	.text
	.amdgcn_target "amdgcn-amd-amdhsa--gfx1100"
	.amdhsa_code_object_version 6
	.protected	bluestein_single_back_len1000_dim1_dp_op_CI_CI ; -- Begin function bluestein_single_back_len1000_dim1_dp_op_CI_CI
	.globl	bluestein_single_back_len1000_dim1_dp_op_CI_CI
	.p2align	8
	.type	bluestein_single_back_len1000_dim1_dp_op_CI_CI,@function
bluestein_single_back_len1000_dim1_dp_op_CI_CI: ; @bluestein_single_back_len1000_dim1_dp_op_CI_CI
; %bb.0:
	s_load_b128 s[16:19], s[0:1], 0x28
	v_mul_u32_u24_e32 v1, 0x290, v0
	s_mov_b32 s2, exec_lo
	v_mov_b32_e32 v113, 0
	s_delay_alu instid0(VALU_DEP_2) | instskip(NEXT) | instid1(VALU_DEP_1)
	v_lshrrev_b32_e32 v1, 16, v1
	v_add_nc_u32_e32 v112, s15, v1
	s_waitcnt lgkmcnt(0)
	s_delay_alu instid0(VALU_DEP_1)
	v_cmpx_gt_u64_e64 s[16:17], v[112:113]
	s_cbranch_execz .LBB0_2
; %bb.1:
	s_clause 0x1
	s_load_b128 s[4:7], s[0:1], 0x18
	s_load_b128 s[8:11], s[0:1], 0x0
	v_mul_lo_u16 v1, 0x64, v1
	s_mov_b32 s17, 0xbfe2cf23
	s_mov_b32 s21, 0xbfd3c6ef
	;; [unrolled: 1-line block ×3, first 2 shown]
	s_load_b64 s[0:1], s[0:1], 0x38
	v_sub_nc_u16 v40, v0, v1
	s_delay_alu instid0(VALU_DEP_1) | instskip(SKIP_3) | instid1(VALU_DEP_1)
	v_and_b32_e32 v115, 0xffff, v40
	s_waitcnt lgkmcnt(0)
	s_load_b128 s[12:15], s[4:5], 0x0
	s_waitcnt lgkmcnt(0)
	v_mad_u64_u32 v[20:21], null, s12, v115, 0
	v_mad_u64_u32 v[12:13], null, s14, v112, 0
	s_mul_hi_u32 s3, s12, 0x640
	s_mul_i32 s4, s12, 0x640
	s_delay_alu instid0(VALU_DEP_2) | instskip(NEXT) | instid1(VALU_DEP_1)
	v_mov_b32_e32 v14, v21
	v_mad_u64_u32 v[15:16], null, s15, v112, v[13:14]
	v_lshlrev_b32_e32 v116, 4, v115
	s_mov_b32 s14, 0x372fe950
	s_mov_b32 s15, 0x3fd3c6ef
	;; [unrolled: 1-line block ×3, first 2 shown]
	s_delay_alu instid0(VALU_DEP_2) | instskip(SKIP_3) | instid1(VALU_DEP_3)
	v_mov_b32_e32 v13, v15
	v_add_co_u32 v117, s2, s8, v116
	v_mad_u64_u32 v[16:17], null, s13, v115, v[14:15]
	v_add_co_ci_u32_e64 v118, null, s9, 0, s2
	v_add_co_u32 v22, vcc_lo, 0x1000, v117
	v_lshlrev_b64 v[26:27], 4, v[12:13]
	s_delay_alu instid0(VALU_DEP_3)
	v_add_co_ci_u32_e32 v23, vcc_lo, 0, v118, vcc_lo
	v_add_co_u32 v24, vcc_lo, 0x2000, v117
	v_mov_b32_e32 v21, v16
	v_add_co_ci_u32_e32 v25, vcc_lo, 0, v118, vcc_lo
	v_add_co_u32 v113, vcc_lo, 0x3000, v117
	v_add_co_ci_u32_e32 v114, vcc_lo, 0, v118, vcc_lo
	s_delay_alu instid0(VALU_DEP_4) | instskip(SKIP_3) | instid1(VALU_DEP_2)
	v_lshlrev_b64 v[20:21], 4, v[20:21]
	v_add_co_u32 v26, vcc_lo, s18, v26
	v_add_co_ci_u32_e32 v27, vcc_lo, s19, v27, vcc_lo
	s_mul_i32 s2, s13, 0x640
	v_add_co_u32 v32, vcc_lo, v26, v20
	s_delay_alu instid0(VALU_DEP_2) | instskip(SKIP_1) | instid1(VALU_DEP_2)
	v_add_co_ci_u32_e32 v33, vcc_lo, v27, v21, vcc_lo
	s_add_i32 s3, s3, s2
	v_add_co_u32 v34, vcc_lo, v32, s4
	s_delay_alu instid0(VALU_DEP_2)
	v_add_co_ci_u32_e32 v35, vcc_lo, s3, v33, vcc_lo
	s_clause 0x2
	global_load_b128 v[8:11], v116, s[8:9]
	global_load_b128 v[4:7], v116, s[8:9] offset:1600
	global_load_b128 v[0:3], v116, s[8:9] offset:3200
	v_add_co_u32 v36, vcc_lo, v34, s4
	v_add_co_ci_u32_e32 v37, vcc_lo, s3, v35, vcc_lo
	s_clause 0x1
	global_load_b128 v[16:19], v[22:23], off offset:704
	global_load_b128 v[12:15], v[22:23], off offset:2304
	v_add_co_u32 v38, vcc_lo, v36, s4
	v_add_co_ci_u32_e32 v39, vcc_lo, s3, v37, vcc_lo
	s_clause 0x2
	global_load_b128 v[20:23], v[22:23], off offset:3904
	global_load_b128 v[28:31], v[24:25], off offset:1408
	;; [unrolled: 1-line block ×3, first 2 shown]
	global_load_b128 v[41:44], v[32:33], off
	v_add_co_u32 v32, vcc_lo, v38, s4
	v_add_co_ci_u32_e32 v33, vcc_lo, s3, v39, vcc_lo
	s_clause 0x1
	global_load_b128 v[45:48], v[34:35], off
	global_load_b128 v[49:52], v[36:37], off
	v_add_co_u32 v34, vcc_lo, v32, s4
	v_add_co_ci_u32_e32 v35, vcc_lo, s3, v33, vcc_lo
	global_load_b128 v[57:60], v[32:33], off
	v_add_co_u32 v36, vcc_lo, v34, s4
	v_add_co_ci_u32_e32 v37, vcc_lo, s3, v35, vcc_lo
	;; [unrolled: 3-line block ×5, first 2 shown]
	global_load_b128 v[69:72], v[32:33], off
	global_load_b128 v[73:76], v[34:35], off
	s_clause 0x1
	global_load_b128 v[32:35], v[113:114], off offset:512
	global_load_b128 v[36:39], v[113:114], off offset:2112
	global_load_b128 v[77:80], v[77:78], off
	s_load_b128 s[4:7], s[6:7], 0x0
	s_mov_b32 s2, 0x134454ff
	s_mov_b32 s3, 0x3fee6f0e
	s_mov_b32 s13, 0xbfee6f0e
	s_mov_b32 s12, s2
	s_mov_b32 s8, 0x4755a5e
	s_mov_b32 s9, 0x3fe2cf23
	s_mov_b32 s16, s8
	s_mov_b32 s18, 0x9b97f4a8
	s_mov_b32 s19, 0x3fe9e377
	s_mov_b32 s22, s18
	s_waitcnt vmcnt(11)
	v_mul_f64 v[81:82], v[43:44], v[10:11]
	v_mul_f64 v[83:84], v[41:42], v[10:11]
	s_waitcnt vmcnt(10)
	v_mul_f64 v[85:86], v[47:48], v[6:7]
	v_mul_f64 v[87:88], v[45:46], v[6:7]
	;; [unrolled: 3-line block ×10, first 2 shown]
	v_fma_f64 v[41:42], v[41:42], v[8:9], v[81:82]
	v_fma_f64 v[43:44], v[43:44], v[8:9], -v[83:84]
	v_fma_f64 v[45:46], v[45:46], v[4:5], v[85:86]
	v_fma_f64 v[47:48], v[47:48], v[4:5], -v[87:88]
	;; [unrolled: 2-line block ×10, first 2 shown]
	ds_store_b128 v116, v[41:44]
	ds_store_b128 v116, v[45:48] offset:1600
	ds_store_b128 v116, v[49:52] offset:3200
	;; [unrolled: 1-line block ×9, first 2 shown]
	s_waitcnt lgkmcnt(0)
	s_barrier
	buffer_gl0_inv
	ds_load_b128 v[41:44], v116 offset:8000
	ds_load_b128 v[45:48], v116 offset:11200
	;; [unrolled: 1-line block ×9, first 2 shown]
	ds_load_b128 v[77:80], v116
	s_waitcnt lgkmcnt(0)
	s_barrier
	buffer_gl0_inv
	v_add_f64 v[81:82], v[41:42], v[45:46]
	v_add_f64 v[87:88], v[43:44], v[47:48]
	;; [unrolled: 1-line block ×4, first 2 shown]
	v_add_f64 v[89:90], v[55:56], -v[51:52]
	v_add_f64 v[93:94], v[41:42], -v[45:46]
	;; [unrolled: 1-line block ×4, first 2 shown]
	v_add_f64 v[97:98], v[61:62], v[65:66]
	v_add_f64 v[99:100], v[57:58], v[69:70]
	;; [unrolled: 1-line block ×4, first 2 shown]
	v_add_f64 v[105:106], v[53:54], -v[41:42]
	v_add_f64 v[107:108], v[49:50], -v[45:46]
	;; [unrolled: 1-line block ×8, first 2 shown]
	v_add_f64 v[137:138], v[77:78], v[57:58]
	v_add_f64 v[143:144], v[79:80], v[59:60]
	v_add_f64 v[53:54], v[73:74], v[53:54]
	v_add_f64 v[55:56], v[75:76], v[55:56]
	v_add_f64 v[139:140], v[59:60], -v[71:72]
	v_add_f64 v[141:142], v[63:64], -v[67:68]
	;; [unrolled: 1-line block ×3, first 2 shown]
	v_fma_f64 v[81:82], v[81:82], -0.5, v[73:74]
	v_fma_f64 v[87:88], v[87:88], -0.5, v[75:76]
	;; [unrolled: 1-line block ×4, first 2 shown]
	v_add_f64 v[75:76], v[61:62], -v[65:66]
	v_fma_f64 v[73:74], v[97:98], -0.5, v[77:78]
	v_fma_f64 v[77:78], v[99:100], -0.5, v[77:78]
	;; [unrolled: 1-line block ×4, first 2 shown]
	v_add_f64 v[99:100], v[105:106], v[107:108]
	v_add_f64 v[103:104], v[121:122], v[123:124]
	v_add_f64 v[123:124], v[59:60], -v[63:64]
	v_add_f64 v[101:102], v[109:110], v[119:120]
	v_add_f64 v[59:60], v[63:64], -v[59:60]
	v_add_f64 v[119:120], v[69:70], -v[65:66]
	;; [unrolled: 1-line block ×3, first 2 shown]
	v_add_f64 v[63:64], v[143:144], v[63:64]
	v_add_f64 v[41:42], v[53:54], v[41:42]
	;; [unrolled: 1-line block ×3, first 2 shown]
	v_fma_f64 v[127:128], v[89:90], s[2:3], v[81:82]
	v_fma_f64 v[81:82], v[89:90], s[12:13], v[81:82]
	;; [unrolled: 1-line block ×12, first 2 shown]
	v_add_f64 v[63:64], v[63:64], v[67:68]
	v_add_f64 v[41:42], v[41:42], v[45:46]
	;; [unrolled: 1-line block ×3, first 2 shown]
	v_fma_f64 v[105:106], v[91:92], s[8:9], v[127:128]
	v_fma_f64 v[81:82], v[91:92], s[16:17], v[81:82]
	;; [unrolled: 1-line block ×6, first 2 shown]
	v_add_f64 v[91:92], v[125:126], v[133:134]
	v_fma_f64 v[89:90], v[93:94], s[8:9], v[135:136]
	v_add_f64 v[95:96], v[57:58], -v[61:62]
	v_add_f64 v[57:58], v[61:62], -v[57:58]
	v_add_f64 v[61:62], v[137:138], v[61:62]
	v_add_f64 v[125:126], v[71:72], -v[67:68]
	v_fma_f64 v[129:130], v[145:146], s[12:13], v[97:98]
	v_fma_f64 v[97:98], v[145:146], s[2:3], v[97:98]
	;; [unrolled: 1-line block ×5, first 2 shown]
	v_add_f64 v[127:128], v[67:68], -v[71:72]
	v_fma_f64 v[45:46], v[141:142], s[8:9], v[53:54]
	v_fma_f64 v[47:48], v[141:142], s[16:17], v[55:56]
	;; [unrolled: 1-line block ×4, first 2 shown]
	v_add_f64 v[63:64], v[63:64], v[71:72]
	v_add_f64 v[49:50], v[41:42], v[49:50]
	;; [unrolled: 1-line block ×3, first 2 shown]
	v_and_b32_e32 v41, 0xff, v40
	v_fma_f64 v[93:94], v[99:100], s[14:15], v[105:106]
	v_fma_f64 v[81:82], v[99:100], s[14:15], v[81:82]
	;; [unrolled: 1-line block ×7, first 2 shown]
	v_add_f64 v[95:96], v[95:96], v[119:120]
	v_add_f64 v[57:58], v[57:58], v[121:122]
	;; [unrolled: 1-line block ×4, first 2 shown]
	v_fma_f64 v[65:66], v[75:76], s[16:17], v[129:130]
	v_fma_f64 v[67:68], v[75:76], s[8:9], v[97:98]
	;; [unrolled: 1-line block ×5, first 2 shown]
	v_add_f64 v[59:60], v[59:60], v[127:128]
	v_add_f64 v[43:44], v[63:64], v[51:52]
	v_mul_f64 v[79:80], v[93:94], s[18:19]
	v_mul_f64 v[93:94], v[93:94], s[16:17]
	;; [unrolled: 1-line block ×8, first 2 shown]
	v_fma_f64 v[71:72], v[95:96], s[14:15], v[47:48]
	v_fma_f64 v[119:120], v[57:58], s[14:15], v[55:56]
	v_add_f64 v[61:62], v[61:62], v[69:70]
	v_fma_f64 v[69:70], v[95:96], s[14:15], v[45:46]
	v_fma_f64 v[121:122], v[99:100], s[14:15], v[65:66]
	v_fma_f64 v[99:100], v[99:100], s[14:15], v[67:68]
	v_fma_f64 v[95:96], v[57:58], s[14:15], v[53:54]
	v_add_f64 v[47:48], v[63:64], -v[51:52]
	v_fma_f64 v[73:74], v[59:60], s[14:15], v[73:74]
	v_fma_f64 v[75:76], v[59:60], s[14:15], v[75:76]
	;; [unrolled: 1-line block ×10, first 2 shown]
	v_mul_lo_u16 v77, 0xcd, v41
	v_add_f64 v[41:42], v[61:62], v[49:50]
	v_add_f64 v[45:46], v[61:62], -v[49:50]
	v_add_f64 v[49:50], v[69:70], v[65:66]
	v_add_f64 v[65:66], v[69:70], -v[65:66]
	v_add_f64 v[53:54], v[95:96], v[67:68]
	v_add_f64 v[51:52], v[121:122], v[85:86]
	;; [unrolled: 1-line block ×7, first 2 shown]
	v_add_f64 v[69:70], v[95:96], -v[67:68]
	v_add_f64 v[67:68], v[121:122], -v[85:86]
	;; [unrolled: 1-line block ×7, first 2 shown]
	v_lshrrev_b16 v76, 11, v77
	v_mul_lo_u16 v74, v40, 10
	s_delay_alu instid0(VALU_DEP_2) | instskip(SKIP_1) | instid1(VALU_DEP_2)
	v_mul_lo_u16 v73, v76, 10
	v_and_b32_e32 v76, 0xffff, v76
	v_sub_nc_u16 v40, v40, v73
	s_delay_alu instid0(VALU_DEP_4) | instskip(NEXT) | instid1(VALU_DEP_3)
	v_and_b32_e32 v73, 0xffff, v74
	v_mul_u32_u24_e32 v76, 0x64, v76
	s_delay_alu instid0(VALU_DEP_3) | instskip(NEXT) | instid1(VALU_DEP_3)
	v_and_b32_e32 v77, 0xff, v40
	v_lshlrev_b32_e32 v120, 4, v73
	ds_store_b128 v120, v[41:44]
	ds_store_b128 v120, v[49:52] offset:16
	ds_store_b128 v120, v[53:56] offset:32
	;; [unrolled: 1-line block ×9, first 2 shown]
	v_mad_u64_u32 v[86:87], null, 0x90, v77, s[10:11]
	s_waitcnt lgkmcnt(0)
	s_barrier
	buffer_gl0_inv
	s_clause 0x8
	global_load_b128 v[40:43], v[86:87], off offset:32
	global_load_b128 v[48:51], v[86:87], off offset:64
	;; [unrolled: 1-line block ×4, first 2 shown]
	global_load_b128 v[52:55], v[86:87], off
	global_load_b128 v[68:71], v[86:87], off offset:16
	global_load_b128 v[64:67], v[86:87], off offset:48
	;; [unrolled: 1-line block ×4, first 2 shown]
	ds_load_b128 v[78:81], v116 offset:4800
	ds_load_b128 v[82:85], v116 offset:8000
	;; [unrolled: 1-line block ×9, first 2 shown]
	ds_load_b128 v[125:128], v116
	v_add_lshl_u32 v119, v76, v77, 4
	s_waitcnt vmcnt(0) lgkmcnt(0)
	s_barrier
	buffer_gl0_inv
	v_mul_f64 v[129:130], v[78:79], v[42:43]
	v_mul_f64 v[131:132], v[84:85], v[50:51]
	;; [unrolled: 1-line block ×10, first 2 shown]
	v_fma_f64 v[80:81], v[80:81], v[40:41], v[129:130]
	v_fma_f64 v[82:83], v[82:83], v[48:49], -v[131:132]
	v_fma_f64 v[84:85], v[84:85], v[48:49], v[133:134]
	v_fma_f64 v[88:89], v[88:89], v[44:45], v[135:136]
	;; [unrolled: 1-line block ×3, first 2 shown]
	v_fma_f64 v[86:87], v[86:87], v[44:45], -v[141:142]
	v_fma_f64 v[78:79], v[78:79], v[40:41], -v[110:111]
	;; [unrolled: 1-line block ×3, first 2 shown]
	v_mul_f64 v[110:111], v[96:97], v[70:71]
	v_mul_f64 v[129:130], v[94:95], v[70:71]
	;; [unrolled: 1-line block ×8, first 2 shown]
	v_fma_f64 v[121:122], v[121:122], v[52:53], -v[143:144]
	v_fma_f64 v[123:124], v[123:124], v[52:53], v[145:146]
	v_add_f64 v[159:160], v[80:81], -v[84:85]
	v_add_f64 v[143:144], v[84:85], v[88:89]
	v_add_f64 v[145:146], v[80:81], v[92:93]
	;; [unrolled: 1-line block ×3, first 2 shown]
	v_add_f64 v[151:152], v[78:79], -v[82:83]
	v_add_f64 v[147:148], v[78:79], v[90:91]
	v_fma_f64 v[94:95], v[94:95], v[68:69], -v[110:111]
	v_fma_f64 v[96:97], v[96:97], v[68:69], v[129:130]
	v_fma_f64 v[98:99], v[98:99], v[64:65], -v[131:132]
	v_fma_f64 v[100:101], v[100:101], v[64:65], v[133:134]
	v_fma_f64 v[102:103], v[102:103], v[60:61], -v[135:136]
	v_fma_f64 v[106:107], v[106:107], v[56:57], -v[137:138]
	v_fma_f64 v[104:105], v[104:105], v[60:61], v[139:140]
	v_fma_f64 v[108:109], v[108:109], v[56:57], v[141:142]
	v_add_f64 v[110:111], v[80:81], -v[92:93]
	v_add_f64 v[131:132], v[78:79], -v[90:91]
	;; [unrolled: 1-line block ×10, first 2 shown]
	v_add_f64 v[78:79], v[121:122], v[78:79]
	v_add_f64 v[80:81], v[123:124], v[80:81]
	v_fma_f64 v[135:136], v[143:144], -0.5, v[123:124]
	v_fma_f64 v[137:138], v[145:146], -0.5, v[123:124]
	;; [unrolled: 1-line block ×4, first 2 shown]
	v_add_f64 v[175:176], v[125:126], v[94:95]
	v_add_f64 v[121:122], v[127:128], v[96:97]
	;; [unrolled: 1-line block ×6, first 2 shown]
	v_add_f64 v[177:178], v[96:97], -v[108:109]
	v_add_f64 v[179:180], v[100:101], -v[104:105]
	;; [unrolled: 1-line block ×4, first 2 shown]
	v_add_f64 v[78:79], v[78:79], v[82:83]
	v_add_f64 v[80:81], v[80:81], v[84:85]
	v_fma_f64 v[167:168], v[131:132], s[12:13], v[135:136]
	v_fma_f64 v[169:170], v[133:134], s[2:3], v[137:138]
	;; [unrolled: 1-line block ×8, first 2 shown]
	v_fma_f64 v[143:144], v[143:144], -0.5, v[125:126]
	v_fma_f64 v[125:126], v[145:146], -0.5, v[125:126]
	;; [unrolled: 1-line block ×4, first 2 shown]
	v_add_f64 v[147:148], v[151:152], v[153:154]
	v_add_f64 v[149:150], v[155:156], v[157:158]
	;; [unrolled: 1-line block ×4, first 2 shown]
	v_add_f64 v[163:164], v[108:109], -v[104:105]
	v_add_f64 v[165:166], v[104:105], -v[108:109]
	v_add_f64 v[78:79], v[78:79], v[86:87]
	v_add_f64 v[80:81], v[80:81], v[88:89]
	v_fma_f64 v[155:156], v[133:134], s[16:17], v[167:168]
	v_fma_f64 v[157:158], v[131:132], s[16:17], v[169:170]
	;; [unrolled: 1-line block ×8, first 2 shown]
	v_add_f64 v[135:136], v[94:95], -v[98:99]
	v_add_f64 v[94:95], v[98:99], -v[94:95]
	;; [unrolled: 1-line block ×4, first 2 shown]
	v_add_f64 v[98:99], v[175:176], v[98:99]
	v_add_f64 v[100:101], v[121:122], v[100:101]
	v_add_f64 v[137:138], v[106:107], -v[102:103]
	v_fma_f64 v[82:83], v[177:178], s[2:3], v[143:144]
	v_fma_f64 v[84:85], v[177:178], s[12:13], v[143:144]
	;; [unrolled: 1-line block ×8, first 2 shown]
	v_add_f64 v[139:140], v[102:103], -v[106:107]
	v_add_f64 v[90:91], v[78:79], v[90:91]
	v_add_f64 v[92:93], v[80:81], v[92:93]
	v_fma_f64 v[155:156], v[151:152], s[14:15], v[155:156]
	v_fma_f64 v[157:158], v[153:154], s[14:15], v[157:158]
	;; [unrolled: 1-line block ×8, first 2 shown]
	v_add_f64 v[96:97], v[96:97], v[165:166]
	v_add_f64 v[98:99], v[98:99], v[102:103]
	;; [unrolled: 1-line block ×5, first 2 shown]
	v_fma_f64 v[82:83], v[179:180], s[8:9], v[82:83]
	v_fma_f64 v[86:87], v[177:178], s[8:9], v[121:122]
	;; [unrolled: 1-line block ×7, first 2 shown]
	v_add_f64 v[94:95], v[94:95], v[139:140]
	v_fma_f64 v[84:85], v[179:180], s[16:17], v[84:85]
	v_mul_f64 v[125:126], v[155:156], s[8:9]
	v_mul_f64 v[127:128], v[157:158], s[2:3]
	;; [unrolled: 1-line block ×8, first 2 shown]
	v_add_f64 v[98:99], v[98:99], v[106:107]
	v_add_f64 v[100:101], v[100:101], v[108:109]
	v_fma_f64 v[106:107], v[135:136], s[14:15], v[82:83]
	v_fma_f64 v[153:154], v[137:138], s[14:15], v[102:103]
	;; [unrolled: 1-line block ×16, first 2 shown]
	v_add_f64 v[78:79], v[98:99], v[90:91]
	v_add_f64 v[80:81], v[100:101], v[92:93]
	v_add_f64 v[82:83], v[98:99], -v[90:91]
	v_add_f64 v[84:85], v[100:101], -v[92:93]
	v_add_f64 v[86:87], v[106:107], v[102:103]
	v_add_f64 v[90:91], v[135:136], v[104:105]
	v_add_f64 v[98:99], v[108:109], v[125:126]
	v_add_f64 v[88:89], v[153:154], v[127:128]
	v_add_f64 v[94:95], v[151:152], v[110:111]
	v_add_f64 v[92:93], v[163:164], v[129:130]
	v_add_f64 v[96:97], v[123:124], v[131:132]
	v_add_f64 v[100:101], v[137:138], v[133:134]
	v_add_f64 v[102:103], v[106:107], -v[102:103]
	v_add_f64 v[106:107], v[135:136], -v[104:105]
	;; [unrolled: 1-line block ×8, first 2 shown]
	v_mad_u64_u32 v[129:130], null, 0x90, v115, s[10:11]
	ds_store_b128 v119, v[78:81]
	ds_store_b128 v119, v[86:89] offset:160
	ds_store_b128 v119, v[90:93] offset:320
	;; [unrolled: 1-line block ×9, first 2 shown]
	s_waitcnt lgkmcnt(0)
	s_barrier
	buffer_gl0_inv
	s_clause 0x8
	global_load_b128 v[76:79], v[129:130], off offset:1472
	global_load_b128 v[84:87], v[129:130], off offset:1504
	;; [unrolled: 1-line block ×9, first 2 shown]
	ds_load_b128 v[121:124], v116 offset:4800
	ds_load_b128 v[125:128], v116 offset:8000
	ds_load_b128 v[129:132], v116 offset:11200
	ds_load_b128 v[133:136], v116 offset:14400
	ds_load_b128 v[137:140], v116 offset:1600
	ds_load_b128 v[141:144], v116 offset:3200
	ds_load_b128 v[145:148], v116
	s_waitcnt vmcnt(8) lgkmcnt(6)
	v_mul_f64 v[153:154], v[121:122], v[78:79]
	s_waitcnt vmcnt(7) lgkmcnt(5)
	v_mul_f64 v[151:152], v[127:128], v[86:87]
	v_mul_f64 v[155:156], v[125:126], v[86:87]
	s_waitcnt vmcnt(6) lgkmcnt(4)
	v_mul_f64 v[157:158], v[129:130], v[82:83]
	s_waitcnt vmcnt(5) lgkmcnt(3)
	v_mul_f64 v[159:160], v[133:134], v[110:111]
	v_mul_f64 v[163:164], v[131:132], v[82:83]
	;; [unrolled: 1-line block ×4, first 2 shown]
	s_waitcnt vmcnt(4) lgkmcnt(2)
	v_mul_f64 v[165:166], v[139:140], v[90:91]
	v_mul_f64 v[167:168], v[137:138], v[90:91]
	v_fma_f64 v[153:154], v[123:124], v[76:77], v[153:154]
	v_fma_f64 v[151:152], v[125:126], v[84:85], -v[151:152]
	v_fma_f64 v[155:156], v[127:128], v[84:85], v[155:156]
	v_fma_f64 v[157:158], v[131:132], v[80:81], v[157:158]
	;; [unrolled: 1-line block ×3, first 2 shown]
	v_fma_f64 v[159:160], v[129:130], v[80:81], -v[163:164]
	v_fma_f64 v[149:150], v[121:122], v[76:77], -v[149:150]
	;; [unrolled: 1-line block ×3, first 2 shown]
	ds_load_b128 v[121:124], v116 offset:6400
	ds_load_b128 v[125:128], v116 offset:9600
	;; [unrolled: 1-line block ×3, first 2 shown]
	s_waitcnt vmcnt(3) lgkmcnt(4)
	v_mul_f64 v[161:162], v[143:144], v[106:107]
	v_mul_f64 v[163:164], v[141:142], v[106:107]
	v_fma_f64 v[137:138], v[137:138], v[88:89], -v[165:166]
	v_fma_f64 v[139:140], v[139:140], v[88:89], v[167:168]
	s_waitcnt vmcnt(2) lgkmcnt(2)
	v_mul_f64 v[169:170], v[123:124], v[102:103]
	v_mul_f64 v[171:172], v[121:122], v[102:103]
	s_waitcnt vmcnt(1) lgkmcnt(1)
	v_mul_f64 v[173:174], v[127:128], v[98:99]
	s_waitcnt vmcnt(0) lgkmcnt(0)
	v_mul_f64 v[175:176], v[131:132], v[94:95]
	v_mul_f64 v[177:178], v[125:126], v[98:99]
	;; [unrolled: 1-line block ×3, first 2 shown]
	v_add_f64 v[193:194], v[153:154], -v[155:156]
	v_add_f64 v[165:166], v[155:156], v[157:158]
	v_add_f64 v[167:168], v[153:154], v[135:136]
	;; [unrolled: 1-line block ×3, first 2 shown]
	v_add_f64 v[185:186], v[149:150], -v[151:152]
	v_add_f64 v[181:182], v[149:150], v[133:134]
	v_add_f64 v[187:188], v[133:134], -v[159:160]
	v_fma_f64 v[141:142], v[141:142], v[104:105], -v[161:162]
	v_fma_f64 v[143:144], v[143:144], v[104:105], v[163:164]
	v_add_f64 v[161:162], v[151:152], -v[159:160]
	v_add_f64 v[163:164], v[155:156], -v[157:158]
	;; [unrolled: 1-line block ×7, first 2 shown]
	v_fma_f64 v[121:122], v[121:122], v[100:101], -v[169:170]
	v_fma_f64 v[123:124], v[123:124], v[100:101], v[171:172]
	v_fma_f64 v[125:126], v[125:126], v[96:97], -v[173:174]
	v_fma_f64 v[129:130], v[129:130], v[92:93], -v[175:176]
	v_fma_f64 v[127:128], v[127:128], v[96:97], v[177:178]
	v_fma_f64 v[131:132], v[131:132], v[92:93], v[179:180]
	v_add_f64 v[169:170], v[153:154], -v[135:136]
	v_add_f64 v[171:172], v[149:150], -v[133:134]
	v_fma_f64 v[165:166], v[165:166], -0.5, v[139:140]
	v_fma_f64 v[167:168], v[167:168], -0.5, v[139:140]
	;; [unrolled: 1-line block ×3, first 2 shown]
	v_add_f64 v[139:140], v[139:140], v[153:154]
	v_fma_f64 v[173:174], v[181:182], -0.5, v[137:138]
	v_add_f64 v[137:138], v[137:138], v[149:150]
	v_add_f64 v[209:210], v[145:146], v[141:142]
	;; [unrolled: 1-line block ×11, first 2 shown]
	v_add_f64 v[153:154], v[143:144], -v[131:132]
	v_add_f64 v[187:188], v[141:142], -v[129:130]
	v_fma_f64 v[201:202], v[171:172], s[12:13], v[165:166]
	v_fma_f64 v[203:204], v[161:162], s[2:3], v[167:168]
	v_fma_f64 v[207:208], v[169:170], s[12:13], v[175:176]
	v_fma_f64 v[175:176], v[169:170], s[2:3], v[175:176]
	v_fma_f64 v[205:206], v[163:164], s[2:3], v[173:174]
	v_fma_f64 v[173:174], v[163:164], s[12:13], v[173:174]
	v_fma_f64 v[167:168], v[161:162], s[12:13], v[167:168]
	v_fma_f64 v[165:166], v[171:172], s[2:3], v[165:166]
	v_add_f64 v[137:138], v[137:138], v[151:152]
	v_add_f64 v[139:140], v[139:140], v[155:156]
	v_fma_f64 v[177:178], v[177:178], -0.5, v[145:146]
	v_fma_f64 v[145:146], v[179:180], -0.5, v[145:146]
	;; [unrolled: 1-line block ×4, first 2 shown]
	v_add_f64 v[181:182], v[121:122], -v[125:126]
	v_add_f64 v[183:184], v[123:124], -v[127:128]
	v_fma_f64 v[195:196], v[161:162], s[16:17], v[201:202]
	v_fma_f64 v[197:198], v[171:172], s[16:17], v[203:204]
	;; [unrolled: 1-line block ×8, first 2 shown]
	v_add_f64 v[165:166], v[141:142], -v[121:122]
	v_add_f64 v[141:142], v[121:122], -v[141:142]
	;; [unrolled: 1-line block ×4, first 2 shown]
	v_add_f64 v[121:122], v[209:210], v[121:122]
	v_add_f64 v[123:124], v[149:150], v[123:124]
	v_add_f64 v[171:172], v[129:130], -v[125:126]
	v_add_f64 v[173:174], v[125:126], -v[129:130]
	;; [unrolled: 1-line block ×4, first 2 shown]
	v_fma_f64 v[149:150], v[153:154], s[2:3], v[177:178]
	v_fma_f64 v[151:152], v[153:154], s[12:13], v[177:178]
	v_fma_f64 v[177:178], v[187:188], s[12:13], v[179:180]
	v_fma_f64 v[179:180], v[187:188], s[2:3], v[179:180]
	v_fma_f64 v[207:208], v[181:182], s[2:3], v[147:148]
	v_fma_f64 v[155:156], v[183:184], s[12:13], v[145:146]
	v_fma_f64 v[145:146], v[183:184], s[2:3], v[145:146]
	v_fma_f64 v[147:148], v[181:182], s[12:13], v[147:148]
	v_fma_f64 v[195:196], v[191:192], s[14:15], v[195:196]
	v_fma_f64 v[197:198], v[193:194], s[14:15], v[197:198]
	v_fma_f64 v[201:202], v[185:186], s[14:15], v[201:202]
	v_fma_f64 v[163:164], v[185:186], s[14:15], v[163:164]
	v_fma_f64 v[199:200], v[189:190], s[14:15], v[199:200]
	v_fma_f64 v[169:170], v[189:190], s[14:15], v[169:170]
	v_fma_f64 v[167:168], v[193:194], s[14:15], v[167:168]
	v_fma_f64 v[161:162], v[191:192], s[14:15], v[161:162]
	v_add_f64 v[121:122], v[121:122], v[125:126]
	v_add_f64 v[123:124], v[123:124], v[127:128]
	;; [unrolled: 1-line block ×8, first 2 shown]
	v_fma_f64 v[137:138], v[183:184], s[8:9], v[149:150]
	v_fma_f64 v[139:140], v[183:184], s[16:17], v[151:152]
	;; [unrolled: 1-line block ×8, first 2 shown]
	v_mul_f64 v[157:158], v[195:196], s[8:9]
	v_mul_f64 v[159:160], v[197:198], s[2:3]
	;; [unrolled: 1-line block ×8, first 2 shown]
	v_add_f64 v[129:130], v[121:122], v[129:130]
	v_add_f64 v[131:132], v[123:124], v[131:132]
	;; [unrolled: 1-line block ×4, first 2 shown]
	v_fma_f64 v[185:186], v[165:166], s[14:15], v[137:138]
	v_fma_f64 v[165:166], v[165:166], s[14:15], v[139:140]
	;; [unrolled: 1-line block ×16, first 2 shown]
	v_add_f64 v[121:122], v[129:130], v[125:126]
	v_add_f64 v[123:124], v[131:132], v[127:128]
	v_add_f64 v[125:126], v[129:130], -v[125:126]
	v_add_f64 v[127:128], v[131:132], -v[127:128]
	v_add_f64 v[129:130], v[185:186], v[145:146]
	v_add_f64 v[133:134], v[149:150], v[147:148]
	;; [unrolled: 1-line block ×8, first 2 shown]
	v_add_f64 v[145:146], v[185:186], -v[145:146]
	v_add_f64 v[149:150], v[149:150], -v[147:148]
	;; [unrolled: 1-line block ×8, first 2 shown]
	ds_store_b128 v116, v[121:124]
	ds_store_b128 v116, v[129:132] offset:1600
	ds_store_b128 v116, v[133:136] offset:3200
	ds_store_b128 v116, v[137:140] offset:4800
	ds_store_b128 v116, v[125:128] offset:8000
	ds_store_b128 v116, v[141:144] offset:6400
	ds_store_b128 v116, v[145:148] offset:9600
	ds_store_b128 v116, v[149:152] offset:11200
	ds_store_b128 v116, v[153:156] offset:12800
	ds_store_b128 v116, v[157:160] offset:14400
	s_waitcnt lgkmcnt(0)
	s_barrier
	buffer_gl0_inv
	global_load_b128 v[121:124], v[113:114], off offset:3712
	v_add_co_u32 v113, vcc_lo, 0x3e80, v117
	v_add_co_ci_u32_e32 v114, vcc_lo, 0, v118, vcc_lo
	s_clause 0x1
	global_load_b128 v[125:128], v[113:114], off offset:1600
	global_load_b128 v[129:132], v[113:114], off offset:3200
	v_add_co_u32 v113, vcc_lo, 0x5000, v117
	v_add_co_ci_u32_e32 v114, vcc_lo, 0, v118, vcc_lo
	v_add_co_u32 v149, vcc_lo, 0x6000, v117
	v_add_co_ci_u32_e32 v150, vcc_lo, 0, v118, vcc_lo
	s_clause 0x3
	global_load_b128 v[133:136], v[113:114], off offset:320
	global_load_b128 v[137:140], v[113:114], off offset:1920
	;; [unrolled: 1-line block ×4, first 2 shown]
	v_add_co_u32 v113, vcc_lo, 0x7000, v117
	v_add_co_ci_u32_e32 v114, vcc_lo, 0, v118, vcc_lo
	s_clause 0x2
	global_load_b128 v[149:152], v[149:150], off offset:2624
	global_load_b128 v[153:156], v[113:114], off offset:128
	;; [unrolled: 1-line block ×3, first 2 shown]
	ds_load_b128 v[161:164], v116
	ds_load_b128 v[165:168], v116 offset:1600
	ds_load_b128 v[169:172], v116 offset:3200
	;; [unrolled: 1-line block ×8, first 2 shown]
	s_waitcnt vmcnt(9) lgkmcnt(8)
	v_mul_f64 v[113:114], v[163:164], v[123:124]
	v_mul_f64 v[117:118], v[161:162], v[123:124]
	s_waitcnt vmcnt(8) lgkmcnt(7)
	v_mul_f64 v[197:198], v[167:168], v[127:128]
	v_mul_f64 v[127:128], v[165:166], v[127:128]
	;; [unrolled: 3-line block ×4, first 2 shown]
	v_fma_f64 v[161:162], v[161:162], v[121:122], -v[113:114]
	v_fma_f64 v[163:164], v[163:164], v[121:122], v[117:118]
	ds_load_b128 v[121:124], v116 offset:14400
	s_waitcnt vmcnt(5) lgkmcnt(5)
	v_mul_f64 v[113:114], v[179:180], v[139:140]
	v_mul_f64 v[117:118], v[177:178], v[139:140]
	s_waitcnt vmcnt(4) lgkmcnt(4)
	v_mul_f64 v[139:140], v[183:184], v[143:144]
	v_mul_f64 v[143:144], v[181:182], v[143:144]
	v_fma_f64 v[165:166], v[165:166], v[125:126], -v[197:198]
	s_waitcnt vmcnt(3) lgkmcnt(3)
	v_mul_f64 v[197:198], v[187:188], v[147:148]
	v_mul_f64 v[147:148], v[185:186], v[147:148]
	v_fma_f64 v[167:168], v[167:168], v[125:126], v[127:128]
	v_fma_f64 v[125:126], v[169:170], v[129:130], -v[199:200]
	s_waitcnt vmcnt(2) lgkmcnt(2)
	v_mul_f64 v[169:170], v[191:192], v[151:152]
	v_mul_f64 v[151:152], v[189:190], v[151:152]
	v_fma_f64 v[127:128], v[171:172], v[129:130], v[131:132]
	s_waitcnt vmcnt(1) lgkmcnt(1)
	v_mul_f64 v[171:172], v[195:196], v[155:156]
	v_mul_f64 v[155:156], v[193:194], v[155:156]
	v_fma_f64 v[129:130], v[173:174], v[133:134], -v[201:202]
	v_fma_f64 v[131:132], v[175:176], v[133:134], v[135:136]
	s_waitcnt vmcnt(0) lgkmcnt(0)
	v_mul_f64 v[173:174], v[123:124], v[159:160]
	v_mul_f64 v[159:160], v[121:122], v[159:160]
	v_fma_f64 v[133:134], v[177:178], v[137:138], -v[113:114]
	v_fma_f64 v[135:136], v[179:180], v[137:138], v[117:118]
	v_fma_f64 v[137:138], v[181:182], v[141:142], -v[139:140]
	v_fma_f64 v[139:140], v[183:184], v[141:142], v[143:144]
	;; [unrolled: 2-line block ×6, first 2 shown]
	ds_store_b128 v116, v[161:164]
	ds_store_b128 v116, v[165:168] offset:1600
	ds_store_b128 v116, v[125:128] offset:3200
	;; [unrolled: 1-line block ×9, first 2 shown]
	s_waitcnt lgkmcnt(0)
	s_barrier
	buffer_gl0_inv
	ds_load_b128 v[121:124], v116 offset:4800
	ds_load_b128 v[125:128], v116 offset:8000
	;; [unrolled: 1-line block ×7, first 2 shown]
	s_waitcnt lgkmcnt(5)
	v_add_f64 v[179:180], v[121:122], -v[125:126]
	s_waitcnt lgkmcnt(4)
	v_add_f64 v[113:114], v[127:128], v[131:132]
	v_add_f64 v[149:150], v[125:126], v[129:130]
	s_waitcnt lgkmcnt(3)
	v_add_f64 v[117:118], v[123:124], v[135:136]
	v_add_f64 v[161:162], v[121:122], v[133:134]
	v_add_f64 v[165:166], v[121:122], -v[133:134]
	v_add_f64 v[167:168], v[123:124], -v[135:136]
	;; [unrolled: 1-line block ×9, first 2 shown]
	s_waitcnt lgkmcnt(2)
	v_add_f64 v[123:124], v[139:140], v[123:124]
	v_add_f64 v[207:208], v[129:130], -v[133:134]
	v_fma_f64 v[113:114], v[113:114], -0.5, v[139:140]
	v_fma_f64 v[169:170], v[149:150], -0.5, v[137:138]
	v_fma_f64 v[117:118], v[117:118], -0.5, v[139:140]
	ds_load_b128 v[149:152], v116 offset:6400
	ds_load_b128 v[153:156], v116 offset:12800
	ds_load_b128 v[157:160], v116
	v_fma_f64 v[161:162], v[161:162], -0.5, v[137:138]
	v_add_f64 v[137:138], v[137:138], v[121:122]
	v_add_f64 v[121:122], v[125:126], -v[121:122]
	s_waitcnt lgkmcnt(0)
	s_barrier
	buffer_gl0_inv
	v_add_f64 v[123:124], v[123:124], v[127:128]
	v_add_f64 v[171:172], v[149:150], v[145:146]
	;; [unrolled: 1-line block ×7, first 2 shown]
	v_add_f64 v[139:140], v[143:144], -v[155:156]
	v_add_f64 v[203:204], v[141:142], -v[153:154]
	;; [unrolled: 1-line block ×4, first 2 shown]
	v_fma_f64 v[193:194], v[165:166], s[2:3], v[113:114]
	v_fma_f64 v[113:114], v[165:166], s[12:13], v[113:114]
	;; [unrolled: 1-line block ×6, first 2 shown]
	v_add_f64 v[125:126], v[137:138], v[125:126]
	v_add_f64 v[121:122], v[121:122], v[207:208]
	;; [unrolled: 1-line block ×3, first 2 shown]
	v_fma_f64 v[171:172], v[171:172], -0.5, v[157:158]
	v_fma_f64 v[157:158], v[173:174], -0.5, v[157:158]
	;; [unrolled: 1-line block ×4, first 2 shown]
	v_add_f64 v[175:176], v[179:180], v[185:186]
	v_add_f64 v[177:178], v[181:182], v[187:188]
	;; [unrolled: 1-line block ×3, first 2 shown]
	v_fma_f64 v[181:182], v[191:192], s[2:3], v[161:162]
	v_fma_f64 v[161:162], v[191:192], s[12:13], v[161:162]
	v_add_f64 v[127:128], v[201:202], v[151:152]
	v_add_f64 v[187:188], v[143:144], -v[151:152]
	v_add_f64 v[143:144], v[151:152], -v[143:144]
	;; [unrolled: 1-line block ×3, first 2 shown]
	v_fma_f64 v[183:184], v[163:164], s[8:9], v[193:194]
	v_fma_f64 v[113:114], v[163:164], s[16:17], v[113:114]
	;; [unrolled: 1-line block ×5, first 2 shown]
	v_add_f64 v[165:166], v[141:142], -v[149:150]
	v_add_f64 v[141:142], v[149:150], -v[141:142]
	v_add_f64 v[149:150], v[199:200], v[149:150]
	v_add_f64 v[193:194], v[145:146], -v[153:154]
	v_add_f64 v[195:196], v[155:156], -v[147:148]
	v_fma_f64 v[169:170], v[191:192], s[8:9], v[169:170]
	v_add_f64 v[197:198], v[147:148], -v[155:156]
	v_add_f64 v[125:126], v[125:126], v[129:130]
	v_fma_f64 v[137:138], v[139:140], s[12:13], v[171:172]
	v_fma_f64 v[151:152], v[139:140], s[2:3], v[171:172]
	;; [unrolled: 1-line block ×10, first 2 shown]
	v_add_f64 v[127:128], v[127:128], v[147:148]
	v_fma_f64 v[167:168], v[177:178], s[14:15], v[183:184]
	v_fma_f64 v[113:114], v[177:178], s[14:15], v[113:114]
	v_fma_f64 v[163:164], v[175:176], s[14:15], v[163:164]
	v_fma_f64 v[183:184], v[179:180], s[14:15], v[185:186]
	v_fma_f64 v[117:118], v[179:180], s[14:15], v[117:118]
	v_add_f64 v[165:166], v[165:166], v[189:190]
	v_add_f64 v[129:130], v[149:150], v[145:146]
	;; [unrolled: 1-line block ×7, first 2 shown]
	v_fma_f64 v[131:132], v[205:206], s[16:17], v[137:138]
	v_fma_f64 v[137:138], v[205:206], s[8:9], v[151:152]
	;; [unrolled: 1-line block ×11, first 2 shown]
	v_add_f64 v[127:128], v[127:128], v[155:156]
	v_mul_f64 v[161:162], v[167:168], s[16:17]
	v_mul_f64 v[175:176], v[113:114], s[16:17]
	;; [unrolled: 1-line block ×8, first 2 shown]
	v_add_f64 v[129:130], v[129:130], v[153:154]
	v_fma_f64 v[153:154], v[165:166], s[14:15], v[131:132]
	v_fma_f64 v[155:156], v[165:166], s[14:15], v[137:138]
	v_fma_f64 v[165:166], v[141:142], s[14:15], v[145:146]
	v_fma_f64 v[183:184], v[141:142], s[14:15], v[139:140]
	v_fma_f64 v[147:148], v[177:178], s[14:15], v[147:148]
	v_fma_f64 v[151:152], v[143:144], s[14:15], v[151:152]
	v_fma_f64 v[185:186], v[143:144], s[14:15], v[157:158]
	v_fma_f64 v[177:178], v[177:178], s[14:15], v[149:150]
	v_add_f64 v[123:124], v[127:128], v[133:134]
	v_add_f64 v[127:128], v[127:128], -v[133:134]
	v_fma_f64 v[145:146], v[163:164], s[18:19], v[161:162]
	v_fma_f64 v[161:162], v[159:160], s[22:23], v[175:176]
	;; [unrolled: 1-line block ×8, first 2 shown]
	v_add_f64 v[121:122], v[129:130], v[125:126]
	v_add_f64 v[125:126], v[129:130], -v[125:126]
	v_add_f64 v[129:130], v[153:154], v[145:146]
	v_add_f64 v[141:142], v[155:156], v[161:162]
	;; [unrolled: 1-line block ×8, first 2 shown]
	v_add_f64 v[145:146], v[153:154], -v[145:146]
	v_add_f64 v[147:148], v[147:148], -v[163:164]
	;; [unrolled: 1-line block ×8, first 2 shown]
	ds_store_b128 v120, v[121:124]
	ds_store_b128 v120, v[129:132] offset:16
	ds_store_b128 v120, v[133:136] offset:32
	;; [unrolled: 1-line block ×9, first 2 shown]
	s_waitcnt lgkmcnt(0)
	s_barrier
	buffer_gl0_inv
	ds_load_b128 v[120:123], v116 offset:4800
	ds_load_b128 v[124:127], v116 offset:8000
	;; [unrolled: 1-line block ×9, first 2 shown]
	ds_load_b128 v[156:159], v116
	s_waitcnt lgkmcnt(0)
	s_barrier
	buffer_gl0_inv
	v_mul_f64 v[113:114], v[42:43], v[120:121]
	v_mul_f64 v[117:118], v[50:51], v[124:125]
	;; [unrolled: 1-line block ×10, first 2 shown]
	v_fma_f64 v[113:114], v[40:41], v[122:123], -v[113:114]
	v_fma_f64 v[117:118], v[48:49], v[126:127], -v[117:118]
	v_fma_f64 v[122:123], v[44:45], v[130:131], -v[160:161]
	v_fma_f64 v[126:127], v[72:73], v[134:135], -v[162:163]
	v_mul_f64 v[130:131], v[70:71], v[138:139]
	v_mul_f64 v[70:71], v[70:71], v[136:137]
	v_mul_f64 v[134:135], v[66:67], v[142:143]
	v_mul_f64 v[66:67], v[66:67], v[140:141]
	v_mul_f64 v[160:161], v[62:63], v[146:147]
	v_mul_f64 v[162:163], v[58:59], v[150:151]
	v_mul_f64 v[62:63], v[62:63], v[144:145]
	v_mul_f64 v[58:59], v[58:59], v[148:149]
	v_fma_f64 v[40:41], v[40:41], v[120:121], v[42:43]
	v_fma_f64 v[42:43], v[48:49], v[124:125], v[50:51]
	;; [unrolled: 1-line block ×4, first 2 shown]
	v_fma_f64 v[48:49], v[52:53], v[154:155], -v[164:165]
	v_fma_f64 v[52:53], v[52:53], v[152:153], v[54:55]
	v_add_f64 v[50:51], v[117:118], v[122:123]
	v_add_f64 v[72:73], v[113:114], v[126:127]
	v_fma_f64 v[74:75], v[68:69], v[136:137], v[130:131]
	v_fma_f64 v[68:69], v[68:69], v[138:139], -v[70:71]
	v_fma_f64 v[70:71], v[64:65], v[140:141], v[134:135]
	v_fma_f64 v[64:65], v[64:65], v[142:143], -v[66:67]
	v_fma_f64 v[66:67], v[60:61], v[144:145], v[160:161]
	v_fma_f64 v[120:121], v[56:57], v[148:149], v[162:163]
	v_fma_f64 v[60:61], v[60:61], v[146:147], -v[62:63]
	v_fma_f64 v[56:57], v[56:57], v[150:151], -v[58:59]
	v_add_f64 v[136:137], v[113:114], -v[126:127]
	v_add_f64 v[138:139], v[113:114], -v[117:118]
	v_add_f64 v[54:55], v[42:43], v[44:45]
	v_add_f64 v[58:59], v[40:41], v[46:47]
	v_add_f64 v[62:63], v[40:41], -v[46:47]
	v_add_f64 v[124:125], v[42:43], -v[44:45]
	v_add_f64 v[140:141], v[126:127], -v[122:123]
	v_add_f64 v[142:143], v[117:118], -v[113:114]
	v_add_f64 v[144:145], v[122:123], -v[126:127]
	v_add_f64 v[146:147], v[117:118], -v[122:123]
	v_add_f64 v[164:165], v[40:41], -v[42:43]
	v_add_f64 v[166:167], v[46:47], -v[44:45]
	v_add_f64 v[168:169], v[44:45], -v[46:47]
	v_fma_f64 v[50:51], v[50:51], -0.5, v[48:49]
	v_fma_f64 v[72:73], v[72:73], -0.5, v[48:49]
	v_add_f64 v[152:153], v[156:157], v[74:75]
	v_add_f64 v[162:163], v[158:159], v[68:69]
	;; [unrolled: 1-line block ×3, first 2 shown]
	v_add_f64 v[170:171], v[68:69], -v[64:65]
	v_add_f64 v[128:129], v[70:71], v[66:67]
	v_add_f64 v[130:131], v[74:75], v[120:121]
	;; [unrolled: 1-line block ×4, first 2 shown]
	v_add_f64 v[154:155], v[68:69], -v[56:57]
	v_add_f64 v[160:161], v[64:65], -v[60:61]
	v_fma_f64 v[54:55], v[54:55], -0.5, v[52:53]
	v_fma_f64 v[58:59], v[58:59], -0.5, v[52:53]
	v_add_f64 v[52:53], v[52:53], v[40:41]
	v_add_f64 v[40:41], v[42:43], -v[40:41]
	v_add_f64 v[138:139], v[138:139], v[140:141]
	v_add_f64 v[68:69], v[64:65], -v[68:69]
	;; [unrolled: 2-line block ×3, first 2 shown]
	v_add_f64 v[174:175], v[60:61], -v[56:57]
	v_fma_f64 v[148:149], v[62:63], s[2:3], v[50:51]
	v_fma_f64 v[150:151], v[124:125], s[12:13], v[72:73]
	;; [unrolled: 1-line block ×4, first 2 shown]
	v_add_f64 v[64:65], v[162:163], v[64:65]
	v_add_f64 v[48:49], v[48:49], v[117:118]
	v_fma_f64 v[113:114], v[128:129], -0.5, v[156:157]
	v_add_f64 v[128:129], v[74:75], -v[120:121]
	v_fma_f64 v[130:131], v[130:131], -0.5, v[156:157]
	v_add_f64 v[156:157], v[70:71], -v[66:67]
	v_fma_f64 v[132:133], v[132:133], -0.5, v[158:159]
	v_fma_f64 v[134:135], v[134:135], -0.5, v[158:159]
	v_fma_f64 v[142:143], v[136:137], s[12:13], v[54:55]
	v_fma_f64 v[54:55], v[136:137], s[2:3], v[54:55]
	;; [unrolled: 1-line block ×4, first 2 shown]
	v_add_f64 v[42:43], v[52:53], v[42:43]
	v_add_f64 v[158:159], v[66:67], -v[120:121]
	v_add_f64 v[52:53], v[164:165], v[166:167]
	v_add_f64 v[40:41], v[40:41], v[168:169]
	;; [unrolled: 1-line block ×3, first 2 shown]
	v_fma_f64 v[148:149], v[124:125], s[8:9], v[148:149]
	v_fma_f64 v[150:151], v[62:63], s[8:9], v[150:151]
	;; [unrolled: 1-line block ×4, first 2 shown]
	v_add_f64 v[72:73], v[74:75], -v[70:71]
	v_add_f64 v[74:75], v[70:71], -v[74:75]
	v_add_f64 v[70:71], v[152:153], v[70:71]
	v_add_f64 v[124:125], v[120:121], -v[66:67]
	v_fma_f64 v[117:118], v[154:155], s[12:13], v[113:114]
	v_fma_f64 v[113:114], v[154:155], s[2:3], v[113:114]
	;; [unrolled: 1-line block ×12, first 2 shown]
	v_add_f64 v[60:61], v[64:65], v[60:61]
	v_add_f64 v[42:43], v[42:43], v[44:45]
	;; [unrolled: 1-line block ×3, first 2 shown]
	v_fma_f64 v[136:137], v[138:139], s[14:15], v[148:149]
	v_fma_f64 v[146:147], v[140:141], s[14:15], v[150:151]
	;; [unrolled: 1-line block ×4, first 2 shown]
	v_add_f64 v[74:75], v[74:75], v[158:159]
	v_add_f64 v[66:67], v[70:71], v[66:67]
	;; [unrolled: 1-line block ×4, first 2 shown]
	v_fma_f64 v[48:49], v[160:161], s[16:17], v[117:118]
	v_fma_f64 v[64:65], v[160:161], s[8:9], v[113:114]
	;; [unrolled: 1-line block ×12, first 2 shown]
	v_add_f64 v[56:57], v[60:61], v[56:57]
	v_add_f64 v[46:47], v[42:43], v[46:47]
	;; [unrolled: 1-line block ×3, first 2 shown]
	v_mul_f64 v[58:59], v[136:137], s[16:17]
	v_mul_f64 v[136:137], v[136:137], s[18:19]
	;; [unrolled: 1-line block ×8, first 2 shown]
	v_add_f64 v[66:67], v[66:67], v[120:121]
	v_fma_f64 v[120:121], v[72:73], s[14:15], v[48:49]
	v_fma_f64 v[126:127], v[72:73], s[14:15], v[64:65]
	;; [unrolled: 1-line block ×8, first 2 shown]
	v_add_f64 v[42:43], v[56:57], v[60:61]
	v_fma_f64 v[64:65], v[132:133], s[18:19], v[58:59]
	v_fma_f64 v[130:131], v[132:133], s[8:9], v[136:137]
	;; [unrolled: 1-line block ×8, first 2 shown]
	v_add_f64 v[40:41], v[66:67], v[46:47]
	v_add_f64 v[44:45], v[66:67], -v[46:47]
	v_add_f64 v[46:47], v[56:57], -v[60:61]
	v_add_f64 v[48:49], v[120:121], v[64:65]
	v_add_f64 v[50:51], v[74:75], v[130:131]
	v_add_f64 v[52:53], v[70:71], v[68:69]
	v_add_f64 v[54:55], v[117:118], v[132:133]
	v_add_f64 v[56:57], v[72:73], v[124:125]
	v_add_f64 v[58:59], v[122:123], v[134:135]
	v_add_f64 v[60:61], v[126:127], v[128:129]
	v_add_f64 v[62:63], v[113:114], v[136:137]
	v_add_f64 v[64:65], v[120:121], -v[64:65]
	v_add_f64 v[66:67], v[74:75], -v[130:131]
	;; [unrolled: 1-line block ×8, first 2 shown]
	ds_store_b128 v119, v[40:43]
	ds_store_b128 v119, v[48:51] offset:160
	ds_store_b128 v119, v[52:55] offset:320
	;; [unrolled: 1-line block ×9, first 2 shown]
	s_waitcnt lgkmcnt(0)
	s_barrier
	buffer_gl0_inv
	ds_load_b128 v[40:43], v116 offset:4800
	ds_load_b128 v[44:47], v116 offset:8000
	;; [unrolled: 1-line block ×9, first 2 shown]
	ds_load_b128 v[117:120], v116
	s_waitcnt lgkmcnt(9)
	v_mul_f64 v[113:114], v[78:79], v[40:41]
	s_waitcnt lgkmcnt(8)
	v_mul_f64 v[121:122], v[86:87], v[44:45]
	;; [unrolled: 2-line block ×4, first 2 shown]
	v_mul_f64 v[78:79], v[78:79], v[42:43]
	v_mul_f64 v[86:87], v[86:87], v[46:47]
	;; [unrolled: 1-line block ×3, first 2 shown]
	s_waitcnt lgkmcnt(1)
	v_mul_f64 v[127:128], v[90:91], v[72:73]
	v_mul_f64 v[110:111], v[110:111], v[54:55]
	;; [unrolled: 1-line block ×3, first 2 shown]
	v_fma_f64 v[42:43], v[76:77], v[42:43], -v[113:114]
	v_fma_f64 v[46:47], v[84:85], v[46:47], -v[121:122]
	;; [unrolled: 1-line block ×4, first 2 shown]
	v_mul_f64 v[113:114], v[106:107], v[58:59]
	v_mul_f64 v[121:122], v[102:103], v[62:63]
	;; [unrolled: 1-line block ×6, first 2 shown]
	v_fma_f64 v[40:41], v[76:77], v[40:41], v[78:79]
	v_fma_f64 v[44:45], v[84:85], v[44:45], v[86:87]
	;; [unrolled: 1-line block ×4, first 2 shown]
	v_fma_f64 v[74:75], v[88:89], v[74:75], -v[127:128]
	v_mul_f64 v[106:107], v[106:107], v[56:57]
	v_mul_f64 v[94:95], v[94:95], v[68:69]
	v_fma_f64 v[72:73], v[88:89], v[72:73], v[90:91]
	v_add_f64 v[76:77], v[46:47], v[50:51]
	v_add_f64 v[78:79], v[42:43], v[54:55]
	v_fma_f64 v[56:57], v[104:105], v[56:57], v[113:114]
	v_fma_f64 v[60:61], v[100:101], v[60:61], v[121:122]
	v_fma_f64 v[62:63], v[100:101], v[62:63], -v[102:103]
	v_fma_f64 v[64:65], v[96:97], v[64:65], v[123:124]
	v_fma_f64 v[68:69], v[92:93], v[68:69], v[125:126]
	v_fma_f64 v[66:67], v[96:97], v[66:67], -v[98:99]
	v_add_f64 v[96:97], v[42:43], -v[54:55]
	v_add_f64 v[98:99], v[42:43], -v[46:47]
	v_add_f64 v[80:81], v[44:45], v[48:49]
	v_add_f64 v[82:83], v[40:41], v[52:53]
	v_add_f64 v[84:85], v[40:41], -v[52:53]
	v_fma_f64 v[58:59], v[104:105], v[58:59], -v[106:107]
	v_fma_f64 v[70:71], v[92:93], v[70:71], -v[94:95]
	v_add_f64 v[86:87], v[44:45], -v[48:49]
	v_add_f64 v[100:101], v[54:55], -v[50:51]
	;; [unrolled: 1-line block ×5, first 2 shown]
	v_add_f64 v[42:43], v[74:75], v[42:43]
	v_add_f64 v[127:128], v[40:41], -v[44:45]
	v_add_f64 v[129:130], v[52:53], -v[48:49]
	;; [unrolled: 1-line block ×3, first 2 shown]
	v_fma_f64 v[76:77], v[76:77], -0.5, v[74:75]
	v_fma_f64 v[78:79], v[78:79], -0.5, v[74:75]
	s_waitcnt lgkmcnt(0)
	v_add_f64 v[113:114], v[117:118], v[56:57]
	v_add_f64 v[88:89], v[60:61], v[64:65]
	;; [unrolled: 1-line block ×4, first 2 shown]
	v_add_f64 v[123:124], v[62:63], -v[66:67]
	v_fma_f64 v[80:81], v[80:81], -0.5, v[72:73]
	v_fma_f64 v[82:83], v[82:83], -0.5, v[72:73]
	v_add_f64 v[72:73], v[72:73], v[40:41]
	v_add_f64 v[125:126], v[119:120], v[58:59]
	;; [unrolled: 1-line block ×3, first 2 shown]
	v_add_f64 v[121:122], v[58:59], -v[70:71]
	v_add_f64 v[40:41], v[44:45], -v[40:41]
	v_add_f64 v[98:99], v[98:99], v[100:101]
	v_add_f64 v[100:101], v[102:103], v[104:105]
	v_add_f64 v[133:134], v[58:59], -v[62:63]
	v_add_f64 v[58:59], v[62:63], -v[58:59]
	v_add_f64 v[42:43], v[42:43], v[46:47]
	v_add_f64 v[135:136], v[70:71], -v[66:67]
	v_add_f64 v[137:138], v[66:67], -v[70:71]
	v_fma_f64 v[108:109], v[84:85], s[2:3], v[76:77]
	v_fma_f64 v[110:111], v[86:87], s[12:13], v[78:79]
	v_fma_f64 v[78:79], v[86:87], s[2:3], v[78:79]
	v_fma_f64 v[76:77], v[84:85], s[12:13], v[76:77]
	v_fma_f64 v[74:75], v[88:89], -0.5, v[117:118]
	v_add_f64 v[88:89], v[56:57], -v[68:69]
	v_fma_f64 v[90:91], v[90:91], -0.5, v[117:118]
	v_fma_f64 v[92:93], v[92:93], -0.5, v[119:120]
	v_add_f64 v[117:118], v[60:61], -v[64:65]
	v_fma_f64 v[102:103], v[96:97], s[12:13], v[80:81]
	v_fma_f64 v[80:81], v[96:97], s[2:3], v[80:81]
	;; [unrolled: 1-line block ×4, first 2 shown]
	v_fma_f64 v[94:95], v[94:95], -0.5, v[119:120]
	v_add_f64 v[62:63], v[125:126], v[62:63]
	v_add_f64 v[44:45], v[72:73], v[44:45]
	v_add_f64 v[119:120], v[64:65], -v[68:69]
	v_add_f64 v[72:73], v[127:128], v[129:130]
	v_add_f64 v[40:41], v[40:41], v[131:132]
	;; [unrolled: 1-line block ×4, first 2 shown]
	v_fma_f64 v[108:109], v[86:87], s[8:9], v[108:109]
	v_fma_f64 v[110:111], v[84:85], s[8:9], v[110:111]
	;; [unrolled: 1-line block ×4, first 2 shown]
	v_add_f64 v[84:85], v[56:57], -v[60:61]
	v_add_f64 v[56:57], v[60:61], -v[56:57]
	v_add_f64 v[60:61], v[113:114], v[60:61]
	v_add_f64 v[86:87], v[68:69], -v[64:65]
	v_fma_f64 v[46:47], v[121:122], s[12:13], v[74:75]
	v_fma_f64 v[74:75], v[121:122], s[2:3], v[74:75]
	;; [unrolled: 1-line block ×12, first 2 shown]
	v_add_f64 v[62:63], v[62:63], v[66:67]
	v_add_f64 v[44:45], v[44:45], v[48:49]
	v_fma_f64 v[96:97], v[98:99], s[14:15], v[108:109]
	v_fma_f64 v[106:107], v[100:101], s[14:15], v[110:111]
	;; [unrolled: 1-line block ×4, first 2 shown]
	v_add_f64 v[56:57], v[56:57], v[119:120]
	v_add_f64 v[60:61], v[60:61], v[64:65]
	;; [unrolled: 1-line block ×4, first 2 shown]
	v_fma_f64 v[46:47], v[123:124], s[16:17], v[46:47]
	v_fma_f64 v[48:49], v[123:124], s[8:9], v[74:75]
	;; [unrolled: 1-line block ×12, first 2 shown]
	v_add_f64 v[62:63], v[62:63], v[70:71]
	v_add_f64 v[44:45], v[44:45], v[52:53]
	;; [unrolled: 1-line block ×3, first 2 shown]
	v_mul_f64 v[82:83], v[96:97], s[16:17]
	v_mul_f64 v[96:97], v[96:97], s[18:19]
	;; [unrolled: 1-line block ×8, first 2 shown]
	v_add_f64 v[60:61], v[60:61], v[68:69]
	v_fma_f64 v[68:69], v[84:85], s[14:15], v[46:47]
	v_fma_f64 v[70:71], v[84:85], s[14:15], v[48:49]
	;; [unrolled: 1-line block ×8, first 2 shown]
	v_add_f64 v[42:43], v[62:63], v[52:53]
	v_add_f64 v[46:47], v[62:63], -v[52:53]
	v_fma_f64 v[64:65], v[92:93], s[18:19], v[82:83]
	v_fma_f64 v[92:93], v[92:93], s[8:9], v[96:97]
	;; [unrolled: 1-line block ×8, first 2 shown]
	v_add_f64 v[40:41], v[60:61], v[44:45]
	v_add_f64 v[44:45], v[60:61], -v[44:45]
	s_mul_i32 s2, s5, 0x640
	s_mul_hi_u32 s3, s4, 0x640
	s_delay_alu instid0(SALU_CYCLE_1)
	s_add_i32 s3, s3, s2
	v_add_f64 v[48:49], v[68:69], v[64:65]
	v_add_f64 v[50:51], v[66:67], v[92:93]
	;; [unrolled: 1-line block ×8, first 2 shown]
	v_add_f64 v[64:65], v[68:69], -v[64:65]
	v_add_f64 v[66:67], v[66:67], -v[92:93]
	;; [unrolled: 1-line block ×8, first 2 shown]
	ds_store_b128 v116, v[40:43]
	ds_store_b128 v116, v[48:51] offset:1600
	ds_store_b128 v116, v[52:55] offset:3200
	;; [unrolled: 1-line block ×9, first 2 shown]
	s_waitcnt lgkmcnt(0)
	s_barrier
	buffer_gl0_inv
	ds_load_b128 v[40:43], v116
	ds_load_b128 v[44:47], v116 offset:1600
	ds_load_b128 v[48:51], v116 offset:3200
	;; [unrolled: 1-line block ×9, first 2 shown]
	v_mad_u64_u32 v[80:81], null, s6, v112, 0
	v_mad_u64_u32 v[82:83], null, s4, v115, 0
	s_mulk_i32 s4, 0x640
	s_delay_alu instid0(VALU_DEP_1)
	v_mad_u64_u32 v[84:85], null, s7, v112, v[81:82]
	s_waitcnt lgkmcnt(9)
	v_mul_f64 v[85:86], v[10:11], v[42:43]
	v_mul_f64 v[10:11], v[10:11], v[40:41]
	s_waitcnt lgkmcnt(8)
	v_mul_f64 v[87:88], v[6:7], v[46:47]
	s_delay_alu instid0(VALU_DEP_4)
	v_mov_b32_e32 v81, v84
	v_mul_f64 v[6:7], v[6:7], v[44:45]
	s_waitcnt lgkmcnt(7)
	v_mul_f64 v[89:90], v[2:3], v[50:51]
	v_mul_f64 v[2:3], v[2:3], v[48:49]
	s_waitcnt lgkmcnt(6)
	v_mul_f64 v[91:92], v[18:19], v[54:55]
	;; [unrolled: 3-line block ×8, first 2 shown]
	v_mul_f64 v[38:39], v[38:39], v[76:77]
	v_mad_u64_u32 v[105:106], null, s5, v115, v[83:84]
	v_lshlrev_b64 v[80:81], 4, v[80:81]
	s_delay_alu instid0(VALU_DEP_2) | instskip(NEXT) | instid1(VALU_DEP_2)
	v_mov_b32_e32 v83, v105
	v_add_co_u32 v80, vcc_lo, s0, v80
	s_delay_alu instid0(VALU_DEP_3) | instskip(NEXT) | instid1(VALU_DEP_3)
	v_add_co_ci_u32_e32 v81, vcc_lo, s1, v81, vcc_lo
	v_lshlrev_b64 v[82:83], 4, v[82:83]
	s_mov_b32 s0, 0xd2f1a9fc
	s_mov_b32 s1, 0x3f50624d
	v_fma_f64 v[40:41], v[8:9], v[40:41], v[85:86]
	v_fma_f64 v[8:9], v[8:9], v[42:43], -v[10:11]
	v_fma_f64 v[10:11], v[4:5], v[44:45], v[87:88]
	v_fma_f64 v[6:7], v[4:5], v[46:47], -v[6:7]
	;; [unrolled: 2-line block ×10, first 2 shown]
	v_add_co_u32 v60, vcc_lo, v80, v82
	v_add_co_ci_u32_e32 v61, vcc_lo, v81, v83, vcc_lo
	s_delay_alu instid0(VALU_DEP_2) | instskip(NEXT) | instid1(VALU_DEP_2)
	v_add_co_u32 v62, vcc_lo, v60, s4
	v_add_co_ci_u32_e32 v63, vcc_lo, s3, v61, vcc_lo
	s_delay_alu instid0(VALU_DEP_2) | instskip(NEXT) | instid1(VALU_DEP_2)
	v_add_co_u32 v64, vcc_lo, v62, s4
	v_add_co_ci_u32_e32 v65, vcc_lo, s3, v63, vcc_lo
	s_delay_alu instid0(VALU_DEP_2)
	v_add_co_u32 v66, vcc_lo, v64, s4
	v_mul_f64 v[0:1], v[40:41], s[0:1]
	v_mul_f64 v[2:3], v[8:9], s[0:1]
	;; [unrolled: 1-line block ×3, first 2 shown]
	v_add_co_ci_u32_e32 v67, vcc_lo, s3, v65, vcc_lo
	v_mul_f64 v[6:7], v[6:7], s[0:1]
	v_mul_f64 v[8:9], v[42:43], s[0:1]
	;; [unrolled: 1-line block ×17, first 2 shown]
	v_add_co_u32 v40, vcc_lo, v66, s4
	v_add_co_ci_u32_e32 v41, vcc_lo, s3, v67, vcc_lo
	s_delay_alu instid0(VALU_DEP_2) | instskip(NEXT) | instid1(VALU_DEP_2)
	v_add_co_u32 v42, vcc_lo, v40, s4
	v_add_co_ci_u32_e32 v43, vcc_lo, s3, v41, vcc_lo
	s_delay_alu instid0(VALU_DEP_2) | instskip(NEXT) | instid1(VALU_DEP_2)
	;; [unrolled: 3-line block ×5, first 2 shown]
	v_add_co_u32 v50, vcc_lo, v48, s4
	v_add_co_ci_u32_e32 v51, vcc_lo, s3, v49, vcc_lo
	s_clause 0x4
	global_store_b128 v[60:61], v[0:3], off
	global_store_b128 v[62:63], v[4:7], off
	;; [unrolled: 1-line block ×10, first 2 shown]
.LBB0_2:
	s_nop 0
	s_sendmsg sendmsg(MSG_DEALLOC_VGPRS)
	s_endpgm
	.section	.rodata,"a",@progbits
	.p2align	6, 0x0
	.amdhsa_kernel bluestein_single_back_len1000_dim1_dp_op_CI_CI
		.amdhsa_group_segment_fixed_size 16000
		.amdhsa_private_segment_fixed_size 0
		.amdhsa_kernarg_size 104
		.amdhsa_user_sgpr_count 15
		.amdhsa_user_sgpr_dispatch_ptr 0
		.amdhsa_user_sgpr_queue_ptr 0
		.amdhsa_user_sgpr_kernarg_segment_ptr 1
		.amdhsa_user_sgpr_dispatch_id 0
		.amdhsa_user_sgpr_private_segment_size 0
		.amdhsa_wavefront_size32 1
		.amdhsa_uses_dynamic_stack 0
		.amdhsa_enable_private_segment 0
		.amdhsa_system_sgpr_workgroup_id_x 1
		.amdhsa_system_sgpr_workgroup_id_y 0
		.amdhsa_system_sgpr_workgroup_id_z 0
		.amdhsa_system_sgpr_workgroup_info 0
		.amdhsa_system_vgpr_workitem_id 0
		.amdhsa_next_free_vgpr 211
		.amdhsa_next_free_sgpr 24
		.amdhsa_reserve_vcc 1
		.amdhsa_float_round_mode_32 0
		.amdhsa_float_round_mode_16_64 0
		.amdhsa_float_denorm_mode_32 3
		.amdhsa_float_denorm_mode_16_64 3
		.amdhsa_dx10_clamp 1
		.amdhsa_ieee_mode 1
		.amdhsa_fp16_overflow 0
		.amdhsa_workgroup_processor_mode 1
		.amdhsa_memory_ordered 1
		.amdhsa_forward_progress 0
		.amdhsa_shared_vgpr_count 0
		.amdhsa_exception_fp_ieee_invalid_op 0
		.amdhsa_exception_fp_denorm_src 0
		.amdhsa_exception_fp_ieee_div_zero 0
		.amdhsa_exception_fp_ieee_overflow 0
		.amdhsa_exception_fp_ieee_underflow 0
		.amdhsa_exception_fp_ieee_inexact 0
		.amdhsa_exception_int_div_zero 0
	.end_amdhsa_kernel
	.text
.Lfunc_end0:
	.size	bluestein_single_back_len1000_dim1_dp_op_CI_CI, .Lfunc_end0-bluestein_single_back_len1000_dim1_dp_op_CI_CI
                                        ; -- End function
	.section	.AMDGPU.csdata,"",@progbits
; Kernel info:
; codeLenInByte = 12604
; NumSgprs: 26
; NumVgprs: 211
; ScratchSize: 0
; MemoryBound: 0
; FloatMode: 240
; IeeeMode: 1
; LDSByteSize: 16000 bytes/workgroup (compile time only)
; SGPRBlocks: 3
; VGPRBlocks: 26
; NumSGPRsForWavesPerEU: 26
; NumVGPRsForWavesPerEU: 211
; Occupancy: 7
; WaveLimiterHint : 1
; COMPUTE_PGM_RSRC2:SCRATCH_EN: 0
; COMPUTE_PGM_RSRC2:USER_SGPR: 15
; COMPUTE_PGM_RSRC2:TRAP_HANDLER: 0
; COMPUTE_PGM_RSRC2:TGID_X_EN: 1
; COMPUTE_PGM_RSRC2:TGID_Y_EN: 0
; COMPUTE_PGM_RSRC2:TGID_Z_EN: 0
; COMPUTE_PGM_RSRC2:TIDIG_COMP_CNT: 0
	.text
	.p2alignl 7, 3214868480
	.fill 96, 4, 3214868480
	.type	__hip_cuid_18bf39a34834e4ee,@object ; @__hip_cuid_18bf39a34834e4ee
	.section	.bss,"aw",@nobits
	.globl	__hip_cuid_18bf39a34834e4ee
__hip_cuid_18bf39a34834e4ee:
	.byte	0                               ; 0x0
	.size	__hip_cuid_18bf39a34834e4ee, 1

	.ident	"AMD clang version 19.0.0git (https://github.com/RadeonOpenCompute/llvm-project roc-6.4.0 25133 c7fe45cf4b819c5991fe208aaa96edf142730f1d)"
	.section	".note.GNU-stack","",@progbits
	.addrsig
	.addrsig_sym __hip_cuid_18bf39a34834e4ee
	.amdgpu_metadata
---
amdhsa.kernels:
  - .args:
      - .actual_access:  read_only
        .address_space:  global
        .offset:         0
        .size:           8
        .value_kind:     global_buffer
      - .actual_access:  read_only
        .address_space:  global
        .offset:         8
        .size:           8
        .value_kind:     global_buffer
      - .actual_access:  read_only
        .address_space:  global
        .offset:         16
        .size:           8
        .value_kind:     global_buffer
      - .actual_access:  read_only
        .address_space:  global
        .offset:         24
        .size:           8
        .value_kind:     global_buffer
      - .actual_access:  read_only
        .address_space:  global
        .offset:         32
        .size:           8
        .value_kind:     global_buffer
      - .offset:         40
        .size:           8
        .value_kind:     by_value
      - .address_space:  global
        .offset:         48
        .size:           8
        .value_kind:     global_buffer
      - .address_space:  global
        .offset:         56
        .size:           8
        .value_kind:     global_buffer
      - .address_space:  global
        .offset:         64
        .size:           8
        .value_kind:     global_buffer
      - .address_space:  global
        .offset:         72
        .size:           8
        .value_kind:     global_buffer
      - .offset:         80
        .size:           4
        .value_kind:     by_value
      - .address_space:  global
        .offset:         88
        .size:           8
        .value_kind:     global_buffer
      - .address_space:  global
        .offset:         96
        .size:           8
        .value_kind:     global_buffer
    .group_segment_fixed_size: 16000
    .kernarg_segment_align: 8
    .kernarg_segment_size: 104
    .language:       OpenCL C
    .language_version:
      - 2
      - 0
    .max_flat_workgroup_size: 100
    .name:           bluestein_single_back_len1000_dim1_dp_op_CI_CI
    .private_segment_fixed_size: 0
    .sgpr_count:     26
    .sgpr_spill_count: 0
    .symbol:         bluestein_single_back_len1000_dim1_dp_op_CI_CI.kd
    .uniform_work_group_size: 1
    .uses_dynamic_stack: false
    .vgpr_count:     211
    .vgpr_spill_count: 0
    .wavefront_size: 32
    .workgroup_processor_mode: 1
amdhsa.target:   amdgcn-amd-amdhsa--gfx1100
amdhsa.version:
  - 1
  - 2
...

	.end_amdgpu_metadata
